;; amdgpu-corpus repo=zjin-lcf/HeCBench kind=compiled arch=gfx1030 opt=O3
	.amdgcn_target "amdgcn-amd-amdhsa--gfx1030"
	.amdhsa_code_object_version 6
	.text
	.protected	_Z11setupKernelPj       ; -- Begin function _Z11setupKernelPj
	.globl	_Z11setupKernelPj
	.p2align	8
	.type	_Z11setupKernelPj,@function
_Z11setupKernelPj:                      ; @_Z11setupKernelPj
; %bb.0:
	s_clause 0x1
	s_load_dword s2, s[4:5], 0x14
	s_load_dwordx2 s[0:1], s[4:5], 0x0
	s_waitcnt lgkmcnt(0)
	s_and_b32 s2, s2, 0xffff
	v_mad_u64_u32 v[0:1], null, s6, s2, v[0:1]
	v_ashrrev_i32_e32 v1, 31, v0
	v_lshlrev_b64 v[1:2], 2, v[0:1]
	v_add_co_u32 v1, vcc_lo, s0, v1
	v_add_co_ci_u32_e64 v2, null, s1, v2, vcc_lo
	s_mov_b32 s0, 0
	s_mov_b32 s1, exec_lo
	global_store_dword v[1:2], v0, off
	v_cmpx_lt_i32_e32 0, v0
	s_cbranch_execz .LBB0_4
; %bb.1:
	v_mov_b32_e32 v3, v0
.LBB0_2:                                ; =>This Inner Loop Header: Depth=1
	v_mad_u64_u32 v[3:4], null, 0x1984a2d, v3, 1
	v_add_nc_u32_e32 v0, -1, v0
	v_cmp_eq_u32_e32 vcc_lo, 0, v0
	v_and_b32_e32 v3, 0x7fffffff, v3
	s_or_b32 s0, vcc_lo, s0
	s_andn2_b32 exec_lo, exec_lo, s0
	s_cbranch_execnz .LBB0_2
; %bb.3:
	s_or_b32 exec_lo, exec_lo, s0
	global_store_dword v[1:2], v3, off
.LBB0_4:
	s_endpgm
	.section	.rodata,"a",@progbits
	.p2align	6, 0x0
	.amdhsa_kernel _Z11setupKernelPj
		.amdhsa_group_segment_fixed_size 0
		.amdhsa_private_segment_fixed_size 0
		.amdhsa_kernarg_size 264
		.amdhsa_user_sgpr_count 6
		.amdhsa_user_sgpr_private_segment_buffer 1
		.amdhsa_user_sgpr_dispatch_ptr 0
		.amdhsa_user_sgpr_queue_ptr 0
		.amdhsa_user_sgpr_kernarg_segment_ptr 1
		.amdhsa_user_sgpr_dispatch_id 0
		.amdhsa_user_sgpr_flat_scratch_init 0
		.amdhsa_user_sgpr_private_segment_size 0
		.amdhsa_wavefront_size32 1
		.amdhsa_uses_dynamic_stack 0
		.amdhsa_system_sgpr_private_segment_wavefront_offset 0
		.amdhsa_system_sgpr_workgroup_id_x 1
		.amdhsa_system_sgpr_workgroup_id_y 0
		.amdhsa_system_sgpr_workgroup_id_z 0
		.amdhsa_system_sgpr_workgroup_info 0
		.amdhsa_system_vgpr_workitem_id 0
		.amdhsa_next_free_vgpr 5
		.amdhsa_next_free_sgpr 7
		.amdhsa_reserve_vcc 1
		.amdhsa_reserve_flat_scratch 0
		.amdhsa_float_round_mode_32 0
		.amdhsa_float_round_mode_16_64 0
		.amdhsa_float_denorm_mode_32 3
		.amdhsa_float_denorm_mode_16_64 3
		.amdhsa_dx10_clamp 1
		.amdhsa_ieee_mode 1
		.amdhsa_fp16_overflow 0
		.amdhsa_workgroup_processor_mode 1
		.amdhsa_memory_ordered 1
		.amdhsa_forward_progress 1
		.amdhsa_shared_vgpr_count 0
		.amdhsa_exception_fp_ieee_invalid_op 0
		.amdhsa_exception_fp_denorm_src 0
		.amdhsa_exception_fp_ieee_div_zero 0
		.amdhsa_exception_fp_ieee_overflow 0
		.amdhsa_exception_fp_ieee_underflow 0
		.amdhsa_exception_fp_ieee_inexact 0
		.amdhsa_exception_int_div_zero 0
	.end_amdhsa_kernel
	.text
.Lfunc_end0:
	.size	_Z11setupKernelPj, .Lfunc_end0-_Z11setupKernelPj
                                        ; -- End function
	.set _Z11setupKernelPj.num_vgpr, 5
	.set _Z11setupKernelPj.num_agpr, 0
	.set _Z11setupKernelPj.numbered_sgpr, 7
	.set _Z11setupKernelPj.num_named_barrier, 0
	.set _Z11setupKernelPj.private_seg_size, 0
	.set _Z11setupKernelPj.uses_vcc, 1
	.set _Z11setupKernelPj.uses_flat_scratch, 0
	.set _Z11setupKernelPj.has_dyn_sized_stack, 0
	.set _Z11setupKernelPj.has_recursion, 0
	.set _Z11setupKernelPj.has_indirect_call, 0
	.section	.AMDGPU.csdata,"",@progbits
; Kernel info:
; codeLenInByte = 152
; TotalNumSgprs: 9
; NumVgprs: 5
; ScratchSize: 0
; MemoryBound: 0
; FloatMode: 240
; IeeeMode: 1
; LDSByteSize: 0 bytes/workgroup (compile time only)
; SGPRBlocks: 0
; VGPRBlocks: 0
; NumSGPRsForWavesPerEU: 9
; NumVGPRsForWavesPerEU: 5
; Occupancy: 16
; WaveLimiterHint : 0
; COMPUTE_PGM_RSRC2:SCRATCH_EN: 0
; COMPUTE_PGM_RSRC2:USER_SGPR: 6
; COMPUTE_PGM_RSRC2:TRAP_HANDLER: 0
; COMPUTE_PGM_RSRC2:TGID_X_EN: 1
; COMPUTE_PGM_RSRC2:TGID_Y_EN: 0
; COMPUTE_PGM_RSRC2:TGID_Z_EN: 0
; COMPUTE_PGM_RSRC2:TIDIG_COMP_CNT: 0
	.text
	.protected	_Z6decodePKfPKiPKjPi    ; -- Begin function _Z6decodePKfPKiPKjPi
	.globl	_Z6decodePKfPKiPKjPi
	.p2align	8
	.type	_Z6decodePKfPKiPKjPi,@function
_Z6decodePKfPKiPKjPi:                   ; @_Z6decodePKfPKiPKjPi
; %bb.0:
	s_add_u32 s0, s0, s7
	s_clause 0x1
	s_load_dword s7, s[4:5], 0x2c
	s_load_dwordx4 s[64:67], s[4:5], 0x8
	s_addc_u32 s1, s1, 0
	s_load_dwordx2 s[68:69], s[4:5], 0x18
	s_mov_b32 s25, 0
	s_mov_b32 s24, exec_lo
	s_waitcnt lgkmcnt(0)
	s_and_b32 s7, s7, 0xffff
	v_mad_u64_u32 v[64:65], null, s6, s7, v[0:1]
	v_ashrrev_i32_e32 v65, 31, v64
	v_lshlrev_b64 v[1:2], 2, v[64:65]
	v_add_co_u32 v1, vcc_lo, s66, v1
	v_add_co_ci_u32_e64 v2, null, s67, v2, vcc_lo
	global_load_dword v71, v[1:2], off
	v_cmpx_eq_u32_e32 0, v0
	s_cbranch_execz .LBB1_3
; %bb.1:
	s_load_dwordx2 s[20:21], s[4:5], 0x0
	s_mov_b64 s[22:23], 0
.LBB1_2:                                ; =>This Inner Loop Header: Depth=1
	s_waitcnt lgkmcnt(0)
	s_add_u32 s26, s20, s22
	s_addc_u32 s27, s21, s23
	v_mov_b32_e32 v26, s25
	s_clause 0x2
	s_load_dwordx16 s[4:19], s[26:27], 0x0
	s_load_dwordx8 s[36:43], s[26:27], 0x40
	s_load_dwordx2 s[26:27], s[26:27], 0x60
	s_add_u32 s22, s22, 0x68
	s_addc_u32 s23, s23, 0
	s_addk_i32 s25, 0x68
	s_cmpk_lg_i32 s22, 0xa90
	s_waitcnt lgkmcnt(0)
	v_mov_b32_e32 v0, s4
	v_mov_b32_e32 v2, s6
	;; [unrolled: 1-line block ×26, first 2 shown]
	ds_write2_b64 v26, v[0:1], v[2:3] offset1:1
	ds_write2_b64 v26, v[4:5], v[6:7] offset0:2 offset1:3
	ds_write2_b64 v26, v[8:9], v[10:11] offset0:4 offset1:5
	;; [unrolled: 1-line block ×5, first 2 shown]
	ds_write_b64 v26, v[24:25] offset:96
	s_cbranch_scc1 .LBB1_2
.LBB1_3:
	s_or_b32 exec_lo, exec_lo, s24
	v_mov_b32_e32 v0, 0
	v_mov_b32_e32 v1, 1
	;; [unrolled: 1-line block ×30, first 2 shown]
	s_mov_b64 s[34:35], 0
	s_waitcnt vmcnt(0) lgkmcnt(0)
	s_barrier
	buffer_gl0_inv
	s_branch .LBB1_5
.LBB1_4:                                ;   in Loop: Header=BB1_5 Depth=1
	s_or_b32 exec_lo, exec_lo, s36
	s_add_u32 s34, s33, 1
	s_addc_u32 s35, s35, 0
	s_cmp_eq_u32 s34, 30
	s_cbranch_scc1 .LBB1_11
.LBB1_5:                                ; =>This Inner Loop Header: Depth=1
	v_mad_u64_u32 v[32:33], null, 0x1984a2d, v71, 1
	s_mov_b32 s33, exec_lo
	v_and_b32_e32 v33, 0x7fffffff, v32
	v_cvt_f32_u32_e32 v33, v33
	v_mul_f32_e32 v33, 0x30000000, v33
	v_mul_f32_e32 v33, 0x41f00000, v33
	v_cvt_i32_f32_e32 v33, v33
	v_cmpx_ne_u32_e64 s34, v33
	s_cbranch_execz .LBB1_7
; %bb.6:                                ;   in Loop: Header=BB1_5 Depth=1
	v_cmp_eq_u32_e32 vcc_lo, 1, v33
	v_cmp_eq_u32_e64 s4, 2, v33
	v_cmp_eq_u32_e64 s5, 3, v33
	;; [unrolled: 1-line block ×4, first 2 shown]
	v_cndmask_b32_e32 v34, v0, v1, vcc_lo
	v_cmp_eq_u32_e64 s8, 6, v33
	v_cmp_eq_u32_e64 s9, 7, v33
	v_cmp_eq_u32_e64 s10, 8, v33
	v_cmp_eq_u32_e64 s11, 9, v33
	v_cndmask_b32_e64 v34, v34, v2, s4
	v_cmp_eq_u32_e64 s12, 10, v33
	v_cmp_eq_u32_e64 s13, 11, v33
	v_cmp_eq_u32_e64 s14, 12, v33
	v_cmp_eq_u32_e64 s15, 13, v33
	v_cndmask_b32_e64 v34, v34, v3, s5
	;; [unrolled: 5-line block ×6, first 2 shown]
	s_mov_b32 m0, s34
	v_movrels_b32_e32 v35, v0
	v_cndmask_b32_e64 v34, v34, v8, s10
	v_cndmask_b32_e64 v34, v34, v9, s11
	v_cndmask_b32_e64 v34, v34, v10, s12
	v_cndmask_b32_e64 v34, v34, v11, s13
	v_cndmask_b32_e64 v34, v34, v12, s14
	v_cndmask_b32_e64 v34, v34, v13, s15
	v_cndmask_b32_e64 v34, v34, v14, s16
	v_cndmask_b32_e64 v34, v34, v15, s17
	v_cndmask_b32_e64 v34, v34, v16, s18
	v_cndmask_b32_e64 v34, v34, v17, s19
	v_cndmask_b32_e64 v34, v34, v18, s20
	v_cndmask_b32_e64 v34, v34, v19, s21
	v_cndmask_b32_e64 v34, v34, v20, s22
	v_cndmask_b32_e64 v34, v34, v21, s23
	v_cndmask_b32_e64 v34, v34, v22, s24
	v_cndmask_b32_e64 v34, v34, v23, s25
	v_cndmask_b32_e64 v34, v34, v24, s26
	v_cndmask_b32_e64 v34, v34, v25, s27
	v_cndmask_b32_e64 v34, v34, v26, s28
	v_cndmask_b32_e64 v34, v34, v27, s29
	v_cndmask_b32_e64 v34, v34, v28, s30
	v_cndmask_b32_e64 v34, v34, v29, s31
	v_sub_nc_u32_e32 v34, v35, v34
	v_movreld_b32_e32 v0, v34
	v_cndmask_b32_e32 v30, v0, v1, vcc_lo
	v_cndmask_b32_e64 v30, v30, v2, s4
	v_cndmask_b32_e64 v30, v30, v3, s5
	;; [unrolled: 1-line block ×28, first 2 shown]
	v_add_nc_u32_e32 v30, v30, v34
	v_cndmask_b32_e32 v1, v1, v30, vcc_lo
	v_cmp_eq_u32_e32 vcc_lo, 0, v33
	v_cndmask_b32_e64 v29, v29, v30, s31
	v_cndmask_b32_e64 v28, v28, v30, s30
	v_cndmask_b32_e64 v27, v27, v30, s29
	v_cndmask_b32_e64 v26, v26, v30, s28
	v_cndmask_b32_e32 v0, v0, v30, vcc_lo
	v_cndmask_b32_e64 v25, v25, v30, s27
	v_cndmask_b32_e64 v24, v24, v30, s26
	v_cndmask_b32_e64 v23, v23, v30, s25
	v_cndmask_b32_e64 v22, v22, v30, s24
	v_cndmask_b32_e64 v21, v21, v30, s23
	v_cndmask_b32_e64 v20, v20, v30, s22
	v_cndmask_b32_e64 v19, v19, v30, s21
	v_cndmask_b32_e64 v18, v18, v30, s20
	v_cndmask_b32_e64 v17, v17, v30, s19
	v_cndmask_b32_e64 v16, v16, v30, s18
	v_cndmask_b32_e64 v15, v15, v30, s17
	v_cndmask_b32_e64 v14, v14, v30, s16
	v_cndmask_b32_e64 v13, v13, v30, s15
	v_cndmask_b32_e64 v12, v12, v30, s14
	v_cndmask_b32_e64 v11, v11, v30, s13
	v_cndmask_b32_e64 v10, v10, v30, s12
	v_cndmask_b32_e64 v9, v9, v30, s11
	v_cndmask_b32_e64 v8, v8, v30, s10
	v_cndmask_b32_e64 v7, v7, v30, s9
	v_cndmask_b32_e64 v6, v6, v30, s8
	v_cndmask_b32_e64 v5, v5, v30, s7
	v_cndmask_b32_e64 v4, v4, v30, s6
	v_cndmask_b32_e64 v3, v3, v30, s5
	v_cndmask_b32_e64 v2, v2, v30, s4
	v_movrels_b32_e32 v31, v0
	v_sub_nc_u32_e32 v30, v30, v31
	v_movreld_b32_e32 v0, v30
.LBB1_7:                                ;   in Loop: Header=BB1_5 Depth=1
	s_or_b32 exec_lo, exec_lo, s33
	v_mad_u64_u32 v[32:33], null, 0x1984a2d, v32, 1
	s_add_u32 s33, s34, 1
	s_addc_u32 s35, s35, 0
	s_mov_b32 s36, exec_lo
	v_and_b32_e32 v33, 0x7fffffff, v32
	v_cvt_f32_u32_e32 v33, v33
	v_mul_f32_e32 v33, 0x30000000, v33
	v_mul_f32_e32 v33, 0x41f00000, v33
	v_cvt_i32_f32_e32 v33, v33
	v_cmpx_ne_u32_e64 s33, v33
	s_cbranch_execz .LBB1_9
; %bb.8:                                ;   in Loop: Header=BB1_5 Depth=1
	v_cmp_eq_u32_e32 vcc_lo, 1, v33
	v_cmp_eq_u32_e64 s4, 2, v33
	v_cmp_eq_u32_e64 s5, 3, v33
	;; [unrolled: 1-line block ×4, first 2 shown]
	v_cndmask_b32_e32 v34, v0, v1, vcc_lo
	v_cmp_eq_u32_e64 s8, 6, v33
	v_cmp_eq_u32_e64 s9, 7, v33
	v_cmp_eq_u32_e64 s10, 8, v33
	v_cmp_eq_u32_e64 s11, 9, v33
	v_cndmask_b32_e64 v34, v34, v2, s4
	v_cmp_eq_u32_e64 s12, 10, v33
	v_cmp_eq_u32_e64 s13, 11, v33
	v_cmp_eq_u32_e64 s14, 12, v33
	v_cmp_eq_u32_e64 s15, 13, v33
	v_cndmask_b32_e64 v34, v34, v3, s5
	;; [unrolled: 5-line block ×6, first 2 shown]
	s_mov_b32 m0, s33
	v_movrels_b32_e32 v35, v0
	v_cndmask_b32_e64 v34, v34, v8, s10
	v_cndmask_b32_e64 v34, v34, v9, s11
	;; [unrolled: 1-line block ×22, first 2 shown]
	v_sub_nc_u32_e32 v34, v35, v34
	v_movreld_b32_e32 v0, v34
	v_cndmask_b32_e32 v30, v0, v1, vcc_lo
	v_cndmask_b32_e64 v30, v30, v2, s4
	v_cndmask_b32_e64 v30, v30, v3, s5
	v_cndmask_b32_e64 v30, v30, v4, s6
	v_cndmask_b32_e64 v30, v30, v5, s7
	v_cndmask_b32_e64 v30, v30, v6, s8
	v_cndmask_b32_e64 v30, v30, v7, s9
	v_cndmask_b32_e64 v30, v30, v8, s10
	v_cndmask_b32_e64 v30, v30, v9, s11
	v_cndmask_b32_e64 v30, v30, v10, s12
	v_cndmask_b32_e64 v30, v30, v11, s13
	v_cndmask_b32_e64 v30, v30, v12, s14
	v_cndmask_b32_e64 v30, v30, v13, s15
	v_cndmask_b32_e64 v30, v30, v14, s16
	v_cndmask_b32_e64 v30, v30, v15, s17
	v_cndmask_b32_e64 v30, v30, v16, s18
	v_cndmask_b32_e64 v30, v30, v17, s19
	v_cndmask_b32_e64 v30, v30, v18, s20
	v_cndmask_b32_e64 v30, v30, v19, s21
	v_cndmask_b32_e64 v30, v30, v20, s22
	v_cndmask_b32_e64 v30, v30, v21, s23
	v_cndmask_b32_e64 v30, v30, v22, s24
	v_cndmask_b32_e64 v30, v30, v23, s25
	v_cndmask_b32_e64 v30, v30, v24, s26
	v_cndmask_b32_e64 v30, v30, v25, s27
	v_cndmask_b32_e64 v30, v30, v26, s28
	v_cndmask_b32_e64 v30, v30, v27, s29
	v_cndmask_b32_e64 v30, v30, v28, s30
	v_cndmask_b32_e64 v30, v30, v29, s31
	v_add_nc_u32_e32 v30, v30, v34
	v_cndmask_b32_e32 v1, v1, v30, vcc_lo
	v_cmp_eq_u32_e32 vcc_lo, 0, v33
	v_cndmask_b32_e64 v29, v29, v30, s31
	v_cndmask_b32_e64 v28, v28, v30, s30
	;; [unrolled: 1-line block ×4, first 2 shown]
	v_cndmask_b32_e32 v0, v0, v30, vcc_lo
	v_cndmask_b32_e64 v25, v25, v30, s27
	v_cndmask_b32_e64 v24, v24, v30, s26
	v_cndmask_b32_e64 v23, v23, v30, s25
	v_cndmask_b32_e64 v22, v22, v30, s24
	v_cndmask_b32_e64 v21, v21, v30, s23
	v_cndmask_b32_e64 v20, v20, v30, s22
	v_cndmask_b32_e64 v19, v19, v30, s21
	v_cndmask_b32_e64 v18, v18, v30, s20
	v_cndmask_b32_e64 v17, v17, v30, s19
	v_cndmask_b32_e64 v16, v16, v30, s18
	v_cndmask_b32_e64 v15, v15, v30, s17
	v_cndmask_b32_e64 v14, v14, v30, s16
	v_cndmask_b32_e64 v13, v13, v30, s15
	v_cndmask_b32_e64 v12, v12, v30, s14
	v_cndmask_b32_e64 v11, v11, v30, s13
	v_cndmask_b32_e64 v10, v10, v30, s12
	v_cndmask_b32_e64 v9, v9, v30, s11
	v_cndmask_b32_e64 v8, v8, v30, s10
	v_cndmask_b32_e64 v7, v7, v30, s9
	v_cndmask_b32_e64 v6, v6, v30, s8
	v_cndmask_b32_e64 v5, v5, v30, s7
	v_cndmask_b32_e64 v4, v4, v30, s6
	v_cndmask_b32_e64 v3, v3, v30, s5
	v_cndmask_b32_e64 v2, v2, v30, s4
	v_movrels_b32_e32 v31, v0
	v_sub_nc_u32_e32 v30, v30, v31
	v_movreld_b32_e32 v0, v30
.LBB1_9:                                ;   in Loop: Header=BB1_5 Depth=1
	s_or_b32 exec_lo, exec_lo, s36
	v_mad_u64_u32 v[32:33], null, 0x1984a2d, v32, 1
	s_add_u32 s33, s33, 1
	s_addc_u32 s35, s35, 0
	s_mov_b32 s36, exec_lo
	v_and_b32_e32 v71, 0x7fffffff, v32
	v_cvt_f32_u32_e32 v32, v71
	v_mul_f32_e32 v32, 0x30000000, v32
	v_mul_f32_e32 v32, 0x41f00000, v32
	v_cvt_i32_f32_e32 v32, v32
	v_cmpx_ne_u32_e64 s33, v32
	s_cbranch_execz .LBB1_4
; %bb.10:                               ;   in Loop: Header=BB1_5 Depth=1
	v_cmp_eq_u32_e32 vcc_lo, 1, v32
	v_cmp_eq_u32_e64 s4, 2, v32
	v_cmp_eq_u32_e64 s5, 3, v32
	;; [unrolled: 1-line block ×4, first 2 shown]
	v_cndmask_b32_e32 v33, v0, v1, vcc_lo
	v_cmp_eq_u32_e64 s8, 6, v32
	v_cmp_eq_u32_e64 s9, 7, v32
	v_cmp_eq_u32_e64 s10, 8, v32
	v_cmp_eq_u32_e64 s11, 9, v32
	v_cndmask_b32_e64 v33, v33, v2, s4
	v_cmp_eq_u32_e64 s12, 10, v32
	v_cmp_eq_u32_e64 s13, 11, v32
	v_cmp_eq_u32_e64 s14, 12, v32
	v_cmp_eq_u32_e64 s15, 13, v32
	v_cndmask_b32_e64 v33, v33, v3, s5
	;; [unrolled: 5-line block ×6, first 2 shown]
	s_add_i32 m0, s34, 2
	v_movrels_b32_e32 v34, v0
	v_cndmask_b32_e64 v33, v33, v8, s10
	v_cndmask_b32_e64 v33, v33, v9, s11
	;; [unrolled: 1-line block ×22, first 2 shown]
	v_sub_nc_u32_e32 v33, v34, v33
	v_movreld_b32_e32 v0, v33
	v_cndmask_b32_e32 v30, v0, v1, vcc_lo
	v_cndmask_b32_e64 v30, v30, v2, s4
	v_cndmask_b32_e64 v30, v30, v3, s5
	;; [unrolled: 1-line block ×28, first 2 shown]
	v_add_nc_u32_e32 v30, v30, v33
	v_cndmask_b32_e32 v1, v1, v30, vcc_lo
	v_cmp_eq_u32_e32 vcc_lo, 0, v32
	v_cndmask_b32_e64 v29, v29, v30, s31
	v_cndmask_b32_e64 v28, v28, v30, s30
	;; [unrolled: 1-line block ×4, first 2 shown]
	v_cndmask_b32_e32 v0, v0, v30, vcc_lo
	v_cndmask_b32_e64 v25, v25, v30, s27
	v_cndmask_b32_e64 v24, v24, v30, s26
	;; [unrolled: 1-line block ×24, first 2 shown]
	v_movrels_b32_e32 v31, v0
	v_sub_nc_u32_e32 v30, v30, v31
	v_movreld_b32_e32 v0, v30
	s_branch .LBB1_4
.LBB1_11:
	v_mov_b32_e32 v70, 0x497423f0
	v_mov_b32_e32 v68, 14
	;; [unrolled: 1-line block ×3, first 2 shown]
	s_mov_b32 s63, 0
	s_mov_b32 s67, 0x84ee0be9
	;; [unrolled: 1-line block ×4, first 2 shown]
	s_branch .LBB1_14
.LBB1_12:                               ;   in Loop: Header=BB1_14 Depth=1
	s_inst_prefetch 0x2
	v_mov_b32_e32 v0, v32
	v_mov_b32_e32 v1, v33
	;; [unrolled: 1-line block ×33, first 2 shown]
.LBB1_13:                               ;   in Loop: Header=BB1_14 Depth=1
	s_or_b32 exec_lo, exec_lo, s4
	s_add_i32 s63, s63, 1
	s_cmp_eq_u32 s63, 0x249f0
	s_cbranch_scc1 .LBB1_58
.LBB1_14:                               ; =>This Loop Header: Depth=1
                                        ;     Child Loop BB1_18 Depth 2
                                        ;     Child Loop BB1_26 Depth 2
                                        ;       Child Loop BB1_29 Depth 3
                                        ;     Child Loop BB1_38 Depth 2
                                        ;     Child Loop BB1_44 Depth 2
                                        ;       Child Loop BB1_46 Depth 3
                                        ;     Child Loop BB1_49 Depth 2
                                        ;     Child Loop BB1_52 Depth 2
	;; [unrolled: 1-line block ×3, first 2 shown]
	s_waitcnt vmcnt(0)
	v_mad_u64_u32 v[65:66], null, 0x1984a2d, v71, 1
                                        ; implicit-def: $vgpr71
	s_mov_b32 s4, exec_lo
	v_and_b32_e32 v66, 0x7fffffff, v65
	v_cvt_f32_u32_e32 v32, v66
	v_mul_f32_e32 v32, 0x30000000, v32
	v_mul_f32_e32 v32, 0x42c80000, v32
	v_cvt_i32_f32_e32 v67, v32
                                        ; implicit-def: $vgpr32_vgpr33_vgpr34_vgpr35_vgpr36_vgpr37_vgpr38_vgpr39_vgpr40_vgpr41_vgpr42_vgpr43_vgpr44_vgpr45_vgpr46_vgpr47_vgpr48_vgpr49_vgpr50_vgpr51_vgpr52_vgpr53_vgpr54_vgpr55_vgpr56_vgpr57_vgpr58_vgpr59_vgpr60_vgpr61_vgpr62_vgpr63
	v_cmpx_lt_i32_e32 49, v67
	s_xor_b32 s71, exec_lo, s4
	s_cbranch_execz .LBB1_34
; %bb.15:                               ;   in Loop: Header=BB1_14 Depth=1
                                        ; implicit-def: $vgpr32_vgpr33_vgpr34_vgpr35_vgpr36_vgpr37_vgpr38_vgpr39_vgpr40_vgpr41_vgpr42_vgpr43_vgpr44_vgpr45_vgpr46_vgpr47_vgpr48_vgpr49_vgpr50_vgpr51_vgpr52_vgpr53_vgpr54_vgpr55_vgpr56_vgpr57_vgpr58_vgpr59_vgpr60_vgpr61_vgpr62_vgpr63
                                        ; implicit-def: $vgpr71
	s_mov_b32 s4, exec_lo
	v_cmpx_lt_u32_e32 0x45, v67
	s_xor_b32 s35, exec_lo, s4
	s_cbranch_execz .LBB1_21
; %bb.16:                               ;   in Loop: Header=BB1_14 Depth=1
	v_mad_u64_u32 v[32:33], null, v65, s67, 0x1984a2e
	v_mov_b32_e32 v72, 0x13a0
	s_mov_b32 s36, exec_lo
	buffer_store_dword v26, v72, s[0:3], 0 offen offset:104
	v_and_b32_e32 v32, 0x7fffffff, v32
	v_mov_b32_e32 v72, 0x13a0
	v_cvt_f32_u32_e32 v32, v32
	buffer_store_dword v27, v72, s[0:3], 0 offen offset:108
	v_mov_b32_e32 v72, 0x13a0
	v_mul_f32_e32 v34, 0x30000000, v32
	v_mad_u64_u32 v[32:33], null, v65, s70, 0xffffffff86865617
	buffer_store_dword v28, v72, s[0:3], 0 offen offset:112
	v_mov_b32_e32 v72, 0x13a0
	v_mul_f32_e32 v33, 0x41e80000, v34
	buffer_store_dword v29, v72, s[0:3], 0 offen offset:116
	v_and_b32_e32 v71, 0x7fffffff, v32
	v_cvt_i32_f32_e32 v66, v33
	v_cvt_f32_u32_e32 v32, v71
	v_add_nc_u32_e32 v33, 1, v66
	v_mul_f32_e32 v32, 0x30000000, v32
	v_cvt_f32_i32_e32 v33, v33
	v_fmac_f32_e32 v33, 0x41e00000, v32
	v_cvt_i32_f32_e32 v32, v33
	v_mul_hi_i32 v33, 0x88888889, v32
	v_add_nc_u32_e32 v33, v33, v32
	v_lshrrev_b32_e32 v34, 31, v33
	v_ashrrev_i32_e32 v33, 4, v33
	v_add_nc_u32_e32 v33, v33, v34
	v_mul_lo_u32 v33, v33, 30
	v_sub_nc_u32_e32 v32, v32, v33
	v_sub_nc_u32_e32 v32, v32, v66
	v_add_nc_u32_e32 v34, 30, v32
	v_mad_u64_u32 v[32:33], null, 0x1984a2d, v65, 1
	v_mul_hi_i32 v35, 0x88888889, v34
	v_and_b32_e32 v32, 0x7fffffff, v32
	v_add_nc_u32_e32 v33, v35, v34
	v_cvt_f32_u32_e32 v32, v32
	v_lshrrev_b32_e32 v35, 31, v33
	v_ashrrev_i32_e32 v33, 4, v33
	v_mul_f32_e32 v32, 0x30000000, v32
	v_add_nc_u32_e32 v33, v33, v35
	v_fma_f32 v32, 0x41e00000, v32, 1.0
	v_mov_b32_e32 v35, 0x13a0
	v_mul_lo_u32 v33, v33, 30
	v_cvt_i32_f32_e32 v32, v32
	buffer_store_dword v8, v35, s[0:3], 0 offen offset:32
	v_mov_b32_e32 v35, 0x13a0
	buffer_store_dword v9, v35, s[0:3], 0 offen offset:36
	v_sub_nc_u32_e32 v65, v34, v33
	v_mov_b32_e32 v34, 0x13a0
	v_mov_b32_e32 v35, 0x13a0
	v_add_nc_u32_e32 v32, v65, v32
	buffer_store_dword v0, v34, s[0:3], 0 offen
	v_mov_b32_e32 v34, 0x13a0
	buffer_store_dword v10, v35, s[0:3], 0 offen offset:40
	v_mov_b32_e32 v35, 0x13a0
	v_mul_hi_i32 v33, 0x88888889, v32
	buffer_store_dword v1, v34, s[0:3], 0 offen offset:4
	v_mov_b32_e32 v34, 0x13a0
	buffer_store_dword v11, v35, s[0:3], 0 offen offset:44
	buffer_store_dword v2, v34, s[0:3], 0 offen offset:8
	v_mov_b32_e32 v34, 0x13a0
	v_add_nc_u32_e32 v33, v33, v32
	buffer_store_dword v3, v34, s[0:3], 0 offen offset:12
	v_mov_b32_e32 v34, 0x13a0
	buffer_store_dword v4, v34, s[0:3], 0 offen offset:16
	v_mov_b32_e32 v34, 0x13a0
	;; [unrolled: 2-line block ×4, first 2 shown]
	buffer_store_dword v7, v34, s[0:3], 0 offen offset:28
	v_lshrrev_b32_e32 v34, 31, v33
	v_ashrrev_i32_e32 v33, 4, v33
	v_add_nc_u32_e32 v33, v33, v34
	v_mov_b32_e32 v34, 0x13a0
	v_mul_lo_u32 v33, v33, 30
	buffer_store_dword v12, v34, s[0:3], 0 offen offset:48
	v_mov_b32_e32 v34, 0x13a0
	buffer_store_dword v13, v34, s[0:3], 0 offen offset:52
	v_mov_b32_e32 v34, 0x13a0
	v_sub_nc_u32_e32 v67, v32, v33
	v_mov_b32_e32 v32, 0x13a0
	buffer_store_dword v14, v34, s[0:3], 0 offen offset:56
	v_mov_b32_e32 v34, 0x13a0
	buffer_store_dword v23, v32, s[0:3], 0 offen offset:92
	;; [unrolled: 2-line block ×6, first 2 shown]
	buffer_store_dword v17, v34, s[0:3], 0 offen offset:68
	v_mov_b32_e32 v34, 0x13a0
	buffer_store_dword v18, v34, s[0:3], 0 offen offset:72
	v_mov_b32_e32 v34, 0x13a0
	;; [unrolled: 2-line block ×6, first 2 shown]
	v_mov_b32_e32 v62, v30
	v_mov_b32_e32 v61, v29
	;; [unrolled: 1-line block ×31, first 2 shown]
	v_cmpx_lt_i32_e32 0, v67
	s_cbranch_execz .LBB1_20
; %bb.17:                               ;   in Loop: Header=BB1_14 Depth=1
	v_sub_nc_u32_e32 v32, 0, v67
	s_mov_b32 s37, 0
	v_max_i32_e32 v72, v67, v32
	v_cvt_f32_u32_e32 v32, v72
	v_sub_nc_u32_e32 v33, 0, v72
	v_rcp_iflag_f32_e32 v32, v32
	v_mul_f32_e32 v32, 0x4f7ffffe, v32
	v_cvt_u32_f32_e32 v73, v32
	v_mul_lo_u32 v32, v33, v73
	v_mul_hi_u32 v74, v73, v32
	v_mov_b32_e32 v63, v31
	v_mov_b32_e32 v62, v30
	;; [unrolled: 1-line block ×32, first 2 shown]
	v_add_nc_u32_e32 v62, v73, v74
	v_mov_b32_e32 v63, v66
.LBB1_18:                               ;   Parent Loop BB1_14 Depth=1
                                        ; =>  This Inner Loop Header: Depth=2
	v_mul_hi_i32 v73, 0x88888889, v63
	v_ashrrev_i32_e32 v75, 31, v65
	v_add_nc_u32_e32 v67, -1, v67
	v_cmp_eq_u32_e32 vcc_lo, 0, v67
	v_add_nc_u32_e32 v73, v73, v63
	s_or_b32 s37, vcc_lo, s37
	v_lshrrev_b32_e32 v74, 31, v73
	v_ashrrev_i32_e32 v73, 4, v73
	v_add_nc_u32_e32 v73, v73, v74
	v_sub_nc_u32_e32 v74, 0, v65
	v_mul_lo_u32 v73, v73, 30
	v_max_i32_e32 v74, v65, v74
	v_add_nc_u32_e32 v65, 1, v65
	v_mul_hi_u32 v76, v74, v62
	v_sub_nc_u32_e32 v73, v63, v73
	v_add_nc_u32_e32 v63, 1, v63
	v_lshl_add_u32 v73, v73, 2, 0x13a0
	v_mul_lo_u32 v76, v76, v72
	buffer_load_dword v73, v73, s[0:3], 0 offen
	v_sub_nc_u32_e32 v74, v74, v76
	v_sub_nc_u32_e32 v76, v74, v72
	v_cmp_ge_u32_e64 s4, v74, v72
	v_cndmask_b32_e64 v74, v74, v76, s4
	v_sub_nc_u32_e32 v76, v74, v72
	v_cmp_ge_u32_e64 s4, v74, v72
	v_cndmask_b32_e64 v74, v74, v76, s4
	v_xor_b32_e32 v74, v74, v75
	v_sub_nc_u32_e32 v74, v74, v75
	v_add_nc_u32_e32 v74, v74, v66
	v_mul_hi_i32 v75, 0x88888889, v74
	v_add_nc_u32_e32 v75, v75, v74
	v_lshrrev_b32_e32 v76, 31, v75
	v_ashrrev_i32_e32 v75, 4, v75
	v_add_nc_u32_e32 v75, v75, v76
	v_mul_lo_u32 v75, v75, 30
	v_sub_nc_u32_e32 v74, v74, v75
	v_cmp_eq_u32_e64 s4, 28, v74
	v_cmp_eq_u32_e64 s5, 27, v74
	;; [unrolled: 1-line block ×30, first 2 shown]
	s_waitcnt vmcnt(0)
	v_cndmask_b32_e64 v61, v61, v73, s34
	v_cndmask_b32_e64 v60, v60, v73, s4
	;; [unrolled: 1-line block ×30, first 2 shown]
	s_andn2_b32 exec_lo, exec_lo, s37
	s_cbranch_execnz .LBB1_18
; %bb.19:                               ;   in Loop: Header=BB1_14 Depth=1
	s_or_b32 exec_lo, exec_lo, s37
.LBB1_20:                               ;   in Loop: Header=BB1_14 Depth=1
	s_or_b32 exec_lo, exec_lo, s36
                                        ; implicit-def: $vgpr66
.LBB1_21:                               ;   in Loop: Header=BB1_14 Depth=1
	s_andn2_saveexec_b32 s72, s35
	s_cbranch_execz .LBB1_33
; %bb.22:                               ;   in Loop: Header=BB1_14 Depth=1
	v_mad_u64_u32 v[65:66], null, 0x1984a2d, v66, 1
	s_mov_b32 s73, exec_lo
	v_and_b32_e32 v71, 0x7fffffff, v65
	v_cvt_f32_u32_e32 v32, v71
	v_mul_f32_e32 v32, 0x30000000, v32
	v_fma_f32 v66, v32, 2.0, 1.0
	v_mov_b32_e32 v63, v31
	v_mov_b32_e32 v62, v30
	;; [unrolled: 1-line block ×32, first 2 shown]
	v_cmpx_lt_f32_e32 0, v66
	s_cbranch_execz .LBB1_32
; %bb.23:                               ;   in Loop: Header=BB1_14 Depth=1
	v_mov_b32_e32 v63, v31
	v_mov_b32_e32 v62, v30
	;; [unrolled: 1-line block ×32, first 2 shown]
	s_mov_b32 s74, 0
	s_mov_b32 s75, 0
	s_branch .LBB1_26
.LBB1_24:                               ;   in Loop: Header=BB1_26 Depth=2
	s_or_b32 exec_lo, exec_lo, s77
.LBB1_25:                               ;   in Loop: Header=BB1_26 Depth=2
	s_or_b32 exec_lo, exec_lo, s76
	v_mad_u64_u32 v[65:66], null, 0x1984a2d, v65, 1
	s_add_i32 s75, s75, 1
	v_cvt_f32_u32_e32 v67, s75
	v_and_b32_e32 v71, 0x7fffffff, v65
	v_cvt_f32_u32_e32 v66, v71
	v_mul_f32_e32 v66, 0x30000000, v66
	v_fma_f32 v66, v66, 2.0, 1.0
	v_cmp_ngt_f32_e32 vcc_lo, v66, v67
	s_or_b32 s74, vcc_lo, s74
	s_andn2_b32 exec_lo, exec_lo, s74
	s_cbranch_execz .LBB1_31
.LBB1_26:                               ;   Parent Loop BB1_14 Depth=1
                                        ; =>  This Loop Header: Depth=2
                                        ;       Child Loop BB1_29 Depth 3
	v_mad_u64_u32 v[66:67], null, 0x1984a2d, v65, 1
	v_mad_u64_u32 v[71:72], null, v65, s67, 0x1984a2e
	s_mov_b32 s76, exec_lo
	v_and_b32_e32 v66, 0x7fffffff, v66
	v_and_b32_e32 v67, 0x7fffffff, v71
	v_mad_u64_u32 v[71:72], null, v65, s70, 0xffffffff86865617
	v_cvt_f32_u32_e32 v66, v66
	v_cvt_f32_u32_e32 v67, v67
	v_mul_f32_e32 v66, 0x30000000, v66
	v_and_b32_e32 v65, 0x7fffffff, v71
	v_mul_f32_e32 v67, 0x30000000, v67
	v_mul_f32_e32 v66, 0x41f00000, v66
	v_mul_f32_e32 v67, 0x41f00000, v67
	v_cvt_i32_f32_e32 v66, v66
	v_cvt_i32_f32_e32 v67, v67
	v_sub_nc_u32_e32 v73, v66, v67
	v_sub_nc_u32_e32 v72, 0, v73
	v_max_i32_e32 v71, v73, v72
	v_cvt_f32_u32_e32 v72, v65
	v_add_nc_u32_e32 v71, -1, v71
	v_mul_f32_e32 v72, 0x30000000, v72
	v_cvt_f32_i32_e32 v71, v71
	v_fma_f32 v71, v72, v71, 1.0
	v_cvt_i32_f32_e32 v71, v71
	v_cmpx_lt_i32_e32 0, v71
	s_cbranch_execz .LBB1_25
; %bb.27:                               ;   in Loop: Header=BB1_26 Depth=2
	s_mov_b32 s77, 0
	s_branch .LBB1_29
.LBB1_28:                               ;   in Loop: Header=BB1_29 Depth=3
	s_or_b32 exec_lo, exec_lo, s78
	v_add_nc_u32_e32 v71, -1, v71
	v_add_nc_u32_e32 v67, 1, v67
	v_add_nc_u32_e32 v66, 1, v66
	v_cmp_eq_u32_e32 vcc_lo, 0, v71
	s_or_b32 s77, vcc_lo, s77
	s_andn2_b32 exec_lo, exec_lo, s77
	s_cbranch_execz .LBB1_24
.LBB1_29:                               ;   Parent Loop BB1_14 Depth=1
                                        ;     Parent Loop BB1_26 Depth=2
                                        ; =>    This Inner Loop Header: Depth=3
	v_mul_hi_i32 v72, 0x88888889, v66
	v_mul_hi_i32 v73, 0x88888889, v67
	s_mov_b32 s78, exec_lo
	v_add_nc_u32_e32 v72, v72, v66
	v_add_nc_u32_e32 v73, v73, v67
	v_lshrrev_b32_e32 v74, 31, v72
	v_ashrrev_i32_e32 v72, 4, v72
	v_lshrrev_b32_e32 v75, 31, v73
	v_ashrrev_i32_e32 v73, 4, v73
	v_add_nc_u32_e32 v72, v72, v74
	v_add_nc_u32_e32 v73, v73, v75
	v_mul_lo_u32 v72, v72, 30
	v_mul_lo_u32 v74, v73, 30
	v_sub_nc_u32_e32 v73, v66, v72
	v_sub_nc_u32_e32 v72, v67, v74
	v_cmpx_ne_u32_e64 v73, v72
	s_cbranch_execz .LBB1_28
; %bb.30:                               ;   in Loop: Header=BB1_29 Depth=3
	v_cmp_eq_u32_e64 s10, 1, v72
	v_cmp_eq_u32_e32 vcc_lo, 1, v73
	v_cmp_eq_u32_e64 s22, 2, v72
	v_cmp_eq_u32_e64 s4, 2, v73
	v_cmp_eq_u32_e64 s23, 3, v72
	v_cndmask_b32_e64 v62, v32, v33, s10
	v_cndmask_b32_e32 v63, v32, v33, vcc_lo
	v_cmp_eq_u32_e64 s5, 3, v73
	v_cmp_eq_u32_e64 s25, 4, v72
	v_cmp_eq_u32_e64 s6, 4, v73
	v_cndmask_b32_e64 v62, v62, v34, s22
	v_cndmask_b32_e64 v63, v63, v34, s4
	v_cmp_eq_u32_e64 s26, 5, v72
	v_cmp_eq_u32_e64 s7, 5, v73
	v_cmp_eq_u32_e64 s28, 6, v72
	v_cndmask_b32_e64 v62, v62, v35, s23
	v_cndmask_b32_e64 v63, v63, v35, s5
	;; [unrolled: 5-line block ×18, first 2 shown]
	v_cndmask_b32_e64 v62, v62, v52, s47
	v_cndmask_b32_e64 v63, v63, v52, s27
	;; [unrolled: 1-line block ×20, first 2 shown]
	v_sub_nc_u32_e32 v62, v63, v62
	v_cndmask_b32_e32 v33, v33, v62, vcc_lo
	v_cndmask_b32_e64 v32, v32, v62, s62
	v_cndmask_b32_e64 v34, v34, v62, s4
	;; [unrolled: 1-line block ×58, first 2 shown]
	v_add_nc_u32_e32 v62, v63, v62
	v_cndmask_b32_e64 v33, v33, v62, s10
	v_cmp_eq_u32_e64 s10, 0, v72
	v_cndmask_b32_e64 v34, v34, v62, s22
	v_cndmask_b32_e64 v35, v35, v62, s23
	;; [unrolled: 1-line block ×9, first 2 shown]
	v_cndmask_b32_e32 v63, v32, v33, vcc_lo
	v_cndmask_b32_e64 v42, v42, v62, s34
	v_cndmask_b32_e64 v43, v43, v62, s36
	;; [unrolled: 1-line block ×48, first 2 shown]
	v_sub_nc_u32_e32 v62, v62, v63
	v_cndmask_b32_e64 v61, v61, v62, s61
	v_cndmask_b32_e64 v60, v60, v62, s59
	;; [unrolled: 1-line block ×28, first 2 shown]
	v_cndmask_b32_e32 v33, v33, v62, vcc_lo
	v_cndmask_b32_e64 v32, v32, v62, s62
	s_branch .LBB1_28
.LBB1_31:                               ;   in Loop: Header=BB1_14 Depth=1
	s_or_b32 exec_lo, exec_lo, s74
.LBB1_32:                               ;   in Loop: Header=BB1_14 Depth=1
	s_or_b32 exec_lo, exec_lo, s73
.LBB1_33:                               ;   in Loop: Header=BB1_14 Depth=1
	s_or_b32 exec_lo, exec_lo, s72
                                        ; implicit-def: $vgpr66
.LBB1_34:                               ;   in Loop: Header=BB1_14 Depth=1
	s_andn2_saveexec_b32 s71, s71
	s_cbranch_execz .LBB1_42
; %bb.35:                               ;   in Loop: Header=BB1_14 Depth=1
	v_mad_u64_u32 v[65:66], null, 0x1984a2d, v66, 1
	s_mov_b32 s72, exec_lo
	v_and_b32_e32 v71, 0x7fffffff, v65
	v_cvt_f32_u32_e32 v32, v71
	v_mul_f32_e32 v32, 0x30000000, v32
	v_fma_f32 v66, v32, 4.0, 1.0
	v_mov_b32_e32 v63, v31
	v_mov_b32_e32 v62, v30
	;; [unrolled: 1-line block ×32, first 2 shown]
	v_cmpx_lt_f32_e32 0, v66
	s_cbranch_execz .LBB1_41
; %bb.36:                               ;   in Loop: Header=BB1_14 Depth=1
	v_mov_b32_e32 v63, v31
	v_mov_b32_e32 v62, v30
	;; [unrolled: 1-line block ×32, first 2 shown]
	s_mov_b32 s74, 1
	s_mov_b32 s73, 0
	s_branch .LBB1_38
.LBB1_37:                               ;   in Loop: Header=BB1_38 Depth=2
	s_or_b32 exec_lo, exec_lo, s75
	v_mad_u64_u32 v[65:66], null, 0x1984a2d, v65, 1
	v_cvt_f32_u32_e32 v67, s74
	s_add_i32 s74, s74, 1
	v_and_b32_e32 v71, 0x7fffffff, v65
	v_cvt_f32_u32_e32 v66, v71
	v_mul_f32_e32 v66, 0x30000000, v66
	v_fma_f32 v66, v66, 4.0, 1.0
	v_cmp_ngt_f32_e32 vcc_lo, v66, v67
	s_or_b32 s73, vcc_lo, s73
	s_andn2_b32 exec_lo, exec_lo, s73
	s_cbranch_execz .LBB1_40
.LBB1_38:                               ;   Parent Loop BB1_14 Depth=1
                                        ; =>  This Inner Loop Header: Depth=2
	v_mad_u64_u32 v[66:67], null, 0x1984a2d, v65, 1
	v_mad_u64_u32 v[71:72], null, v65, s67, 0x1984a2e
	s_mov_b32 s75, exec_lo
	v_and_b32_e32 v66, 0x7fffffff, v66
	v_and_b32_e32 v65, 0x7fffffff, v71
	v_cvt_f32_u32_e32 v66, v66
	v_cvt_f32_u32_e32 v67, v65
	v_mul_f32_e32 v66, 0x30000000, v66
	v_mul_f32_e32 v67, 0x30000000, v67
	;; [unrolled: 1-line block ×4, first 2 shown]
	v_cvt_i32_f32_e32 v67, v66
	v_cvt_i32_f32_e32 v66, v71
	v_cmpx_ne_u32_e64 v67, v66
	s_cbranch_execz .LBB1_37
; %bb.39:                               ;   in Loop: Header=BB1_38 Depth=2
	v_cmp_eq_u32_e64 s10, 1, v66
	v_cmp_eq_u32_e32 vcc_lo, 1, v67
	v_cmp_eq_u32_e64 s22, 2, v66
	v_cmp_eq_u32_e64 s4, 2, v67
	v_cmp_eq_u32_e64 s23, 3, v66
	v_cndmask_b32_e64 v62, v32, v33, s10
	v_cndmask_b32_e32 v63, v32, v33, vcc_lo
	v_cmp_eq_u32_e64 s5, 3, v67
	v_cmp_eq_u32_e64 s25, 4, v66
	v_cmp_eq_u32_e64 s6, 4, v67
	v_cndmask_b32_e64 v62, v62, v34, s22
	v_cndmask_b32_e64 v63, v63, v34, s4
	v_cmp_eq_u32_e64 s26, 5, v66
	v_cmp_eq_u32_e64 s7, 5, v67
	v_cmp_eq_u32_e64 s28, 6, v66
	v_cndmask_b32_e64 v62, v62, v35, s23
	v_cndmask_b32_e64 v63, v63, v35, s5
	;; [unrolled: 5-line block ×18, first 2 shown]
	v_cndmask_b32_e64 v62, v62, v52, s47
	v_cndmask_b32_e64 v63, v63, v52, s27
	v_cndmask_b32_e64 v62, v62, v53, s48
	v_cndmask_b32_e64 v63, v63, v53, s31
	v_cndmask_b32_e64 v62, v62, v54, s49
	v_cndmask_b32_e64 v63, v63, v54, s35
	v_cndmask_b32_e64 v62, v62, v55, s50
	v_cndmask_b32_e64 v63, v63, v55, s39
	v_cndmask_b32_e64 v62, v62, v56, s51
	v_cndmask_b32_e64 v63, v63, v56, s42
	v_cndmask_b32_e64 v62, v62, v57, s52
	v_cndmask_b32_e64 v63, v63, v57, s53
	v_cndmask_b32_e64 v62, v62, v58, s54
	v_cndmask_b32_e64 v63, v63, v58, s55
	v_cndmask_b32_e64 v62, v62, v59, s56
	v_cndmask_b32_e64 v63, v63, v59, s57
	v_cndmask_b32_e64 v62, v62, v60, s58
	v_cndmask_b32_e64 v63, v63, v60, s59
	v_cndmask_b32_e64 v62, v62, v61, s60
	v_cndmask_b32_e64 v63, v63, v61, s61
	v_sub_nc_u32_e32 v62, v63, v62
	v_cndmask_b32_e32 v33, v33, v62, vcc_lo
	v_cndmask_b32_e64 v32, v32, v62, s62
	v_cndmask_b32_e64 v34, v34, v62, s4
	;; [unrolled: 1-line block ×58, first 2 shown]
	v_add_nc_u32_e32 v62, v63, v62
	v_cndmask_b32_e64 v33, v33, v62, s10
	v_cmp_eq_u32_e64 s10, 0, v66
	v_cndmask_b32_e64 v34, v34, v62, s22
	v_cndmask_b32_e64 v35, v35, v62, s23
	;; [unrolled: 1-line block ×9, first 2 shown]
	v_cndmask_b32_e32 v63, v32, v33, vcc_lo
	v_cndmask_b32_e64 v42, v42, v62, s34
	v_cndmask_b32_e64 v43, v43, v62, s36
	;; [unrolled: 1-line block ×48, first 2 shown]
	v_sub_nc_u32_e32 v62, v62, v63
	v_cndmask_b32_e64 v61, v61, v62, s61
	v_cndmask_b32_e64 v60, v60, v62, s59
	;; [unrolled: 1-line block ×28, first 2 shown]
	v_cndmask_b32_e32 v33, v33, v62, vcc_lo
	v_cndmask_b32_e64 v32, v32, v62, s62
	s_branch .LBB1_37
.LBB1_40:                               ;   in Loop: Header=BB1_14 Depth=1
	s_or_b32 exec_lo, exec_lo, s73
.LBB1_41:                               ;   in Loop: Header=BB1_14 Depth=1
	s_or_b32 exec_lo, exec_lo, s72
.LBB1_42:                               ;   in Loop: Header=BB1_14 Depth=1
	s_or_b32 exec_lo, exec_lo, s71
	s_mov_b32 s5, 0
	buffer_store_dword v68, off, s[0:3], 0 offset:1696
	buffer_store_dword v68, off, s[0:3], 0 offset:1700
	buffer_store_dword v68, off, s[0:3], 0 offset:1704
	buffer_store_dword v68, off, s[0:3], 0 offset:1708
	buffer_store_dword v68, off, s[0:3], 0 offset:1712
	buffer_store_dword v68, off, s[0:3], 0 offset:1716
	buffer_store_dword v68, off, s[0:3], 0 offset:1720
	buffer_store_dword v69, off, s[0:3], 0 offset:1724
	buffer_store_dword v69, off, s[0:3], 0 offset:1728
	buffer_store_dword v69, off, s[0:3], 0 offset:1732
	buffer_store_dword v69, off, s[0:3], 0 offset:1736
	buffer_store_dword v69, off, s[0:3], 0 offset:1740
	buffer_store_dword v69, off, s[0:3], 0 offset:1744
	buffer_store_dword v69, off, s[0:3], 0 offset:1748
	buffer_store_dword v69, off, s[0:3], 0 offset:1752
	buffer_store_dword v69, off, s[0:3], 0 offset:1756
	buffer_store_dword v69, off, s[0:3], 0 offset:1760
	buffer_store_dword v69, off, s[0:3], 0 offset:1764
	buffer_store_dword v69, off, s[0:3], 0 offset:1768
	buffer_store_dword v69, off, s[0:3], 0 offset:1772
	buffer_store_dword v69, off, s[0:3], 0 offset:1776
	buffer_store_dword v69, off, s[0:3], 0 offset:1780
	buffer_store_dword v69, off, s[0:3], 0 offset:1784
	buffer_store_dword v69, off, s[0:3], 0 offset:1788
	buffer_store_dword v69, off, s[0:3], 0 offset:1792
	buffer_store_dword v69, off, s[0:3], 0 offset:1796
	buffer_store_dword v69, off, s[0:3], 0 offset:1800
	buffer_store_dword v69, off, s[0:3], 0 offset:1804
	buffer_store_dword v69, off, s[0:3], 0 offset:1808
	buffer_store_dword v69, off, s[0:3], 0 offset:1812
	s_branch .LBB1_44
.LBB1_43:                               ;   in Loop: Header=BB1_44 Depth=2
	s_or_b32 exec_lo, exec_lo, s6
	s_add_i32 s5, s5, 1
	s_cmp_lg_u32 s5, 30
	s_cbranch_scc0 .LBB1_47
.LBB1_44:                               ;   Parent Loop BB1_14 Depth=1
                                        ; =>  This Loop Header: Depth=2
                                        ;       Child Loop BB1_46 Depth 3
	s_lshl_b32 s4, s5, 2
	s_mov_b32 s6, exec_lo
	v_add_nc_u32_e64 v65, 0x6a0, s4
	buffer_load_dword v72, v65, s[0:3], 0 offen
	s_waitcnt vmcnt(0)
	v_cmpx_lt_i32_e32 0, v72
	s_cbranch_execz .LBB1_43
; %bb.45:                               ;   in Loop: Header=BB1_44 Depth=2
	s_mov_b32 m0, s5
	s_mov_b32 s7, 0
	v_movrels_b32_e32 v67, v32
	v_cmp_lt_i32_e32 vcc_lo, v32, v67
	v_cndmask_b32_e64 v65, 0, 14, vcc_lo
	v_cmp_lt_i32_e32 vcc_lo, v33, v67
	v_add_nc_u32_e32 v66, 14, v65
	v_cndmask_b32_e32 v65, v65, v66, vcc_lo
	v_cmp_lt_i32_e32 vcc_lo, v34, v67
	v_add_nc_u32_e32 v66, 14, v65
	v_cndmask_b32_e32 v65, v65, v66, vcc_lo
	;; [unrolled: 3-line block ×29, first 2 shown]
	v_ashrrev_i32_e32 v66, 31, v65
	v_lshlrev_b64 v[73:74], 2, v[65:66]
	v_mad_u64_u32 v[65:66], null, v67, 56, s[66:67]
	v_add_co_u32 v66, vcc_lo, s64, v73
	v_add_co_ci_u32_e64 v67, null, s65, v74, vcc_lo
.LBB1_46:                               ;   Parent Loop BB1_14 Depth=1
                                        ;     Parent Loop BB1_44 Depth=2
                                        ; =>    This Inner Loop Header: Depth=3
	global_load_dword v73, v[66:67], off
	v_add_nc_u32_e32 v72, -1, v72
	v_add_co_u32 v66, vcc_lo, v66, 4
	v_add_co_ci_u32_e64 v67, null, 0, v67, vcc_lo
	v_cmp_eq_u32_e64 s4, 0, v72
	s_or_b32 s7, s4, s7
	s_waitcnt vmcnt(0)
	buffer_store_dword v73, v65, s[0:3], 0 offen
	v_add_nc_u32_e32 v65, 4, v65
	s_andn2_b32 exec_lo, exec_lo, s7
	s_cbranch_execnz .LBB1_46
	s_branch .LBB1_43
.LBB1_47:                               ;   in Loop: Header=BB1_14 Depth=1
	s_movk_i32 s4, 0x720
	s_mov_b32 s5, 7
	s_branch .LBB1_49
.LBB1_48:                               ;   in Loop: Header=BB1_49 Depth=2
	s_andn2_b32 vcc_lo, exec_lo, s6
	s_cbranch_vccz .LBB1_51
.LBB1_49:                               ;   Parent Loop BB1_14 Depth=1
                                        ; =>  This Inner Loop Header: Depth=2
	s_add_i32 s6, s5, -7
	v_mov_b32_e32 v67, s4
	s_and_b32 s7, s6, 0xffff
	s_mul_i32 s7, s7, 0x8889
	s_lshr_b32 s7, s7, 20
	s_mul_i32 s8, s7, 30
	s_sub_i32 s6, s6, s8
	s_and_b32 m0, s6, 0xffff
	s_lshl_b32 s6, s7, 2
	v_movrels_b32_e32 v65, v32
	v_mul_lo_u32 v65, v65, 56
	v_add3_u32 v65, 16, s6, v65
	s_add_i32 s6, s5, -6
	s_and_b32 s7, s6, 0xffff
	s_mul_i32 s7, s7, 0x8889
	buffer_load_dword v65, v65, s[0:3], 0 offen
	s_lshr_b32 s7, s7, 20
	s_mul_i32 s8, s7, 30
	s_sub_i32 s6, s6, s8
	s_and_b32 m0, s6, 0xffff
	s_lshl_b32 s6, s7, 2
	v_movrels_b32_e32 v66, v32
	v_mul_lo_u32 v66, v66, 56
	v_add3_u32 v66, 16, s6, v66
	s_add_i32 s6, s5, -5
	s_and_b32 s7, s6, 0xffff
	s_mul_i32 s7, s7, 0x8889
	s_lshr_b32 s7, s7, 20
	s_mul_i32 s8, s7, 30
	s_sub_i32 s6, s6, s8
	s_and_b32 m0, s6, 0xffff
	s_lshl_b32 s6, s7, 2
	s_waitcnt vmcnt(0)
	buffer_store_dword v65, v67, s[0:3], 0 offen
	buffer_load_dword v65, v66, s[0:3], 0 offen
	v_movrels_b32_e32 v66, v32
	v_mul_lo_u32 v66, v66, 56
	v_add3_u32 v66, 16, s6, v66
	s_add_i32 s6, s5, -4
	s_and_b32 s7, s6, 0xffff
	s_mul_i32 s7, s7, 0x8889
	s_lshr_b32 s7, s7, 20
	s_mul_i32 s8, s7, 30
	s_sub_i32 s6, s6, s8
	s_and_b32 m0, s6, 0xffff
	s_lshl_b32 s6, s7, 2
	s_waitcnt vmcnt(0)
	buffer_store_dword v65, v67, s[0:3], 0 offen offset:4
	buffer_load_dword v65, v66, s[0:3], 0 offen
	v_movrels_b32_e32 v66, v32
	v_mul_lo_u32 v66, v66, 56
	v_add3_u32 v66, 16, s6, v66
	s_add_i32 s6, s5, -3
	s_and_b32 s7, s6, 0xffff
	s_mul_i32 s7, s7, 0x8889
	s_lshr_b32 s7, s7, 20
	s_mul_i32 s8, s7, 30
	s_sub_i32 s6, s6, s8
	s_and_b32 m0, s6, 0xffff
	s_lshl_b32 s6, s7, 2
	s_cmpk_eq_i32 s5, 0x18f
	s_waitcnt vmcnt(0)
	buffer_store_dword v65, v67, s[0:3], 0 offen offset:8
	buffer_load_dword v65, v66, s[0:3], 0 offen
	v_movrels_b32_e32 v66, v32
	v_mul_lo_u32 v66, v66, 56
	v_add3_u32 v66, 16, s6, v66
	s_mov_b32 s6, -1
	s_waitcnt vmcnt(0)
	buffer_store_dword v65, v67, s[0:3], 0 offen offset:12
	buffer_load_dword v65, v66, s[0:3], 0 offen
	s_waitcnt vmcnt(0)
	buffer_store_dword v65, v67, s[0:3], 0 offen offset:16
	s_cbranch_scc1 .LBB1_48
; %bb.50:                               ;   in Loop: Header=BB1_49 Depth=2
	s_add_i32 s6, s5, -2
	v_mov_b32_e32 v67, s4
	s_and_b32 s7, s6, 0xffff
	s_add_i32 s4, s4, 32
	s_mul_i32 s7, s7, 0x8889
	s_lshr_b32 s7, s7, 20
	s_mul_i32 s8, s7, 30
	s_sub_i32 s6, s6, s8
	s_and_b32 m0, s6, 0xffff
	s_lshl_b32 s6, s7, 2
	v_movrels_b32_e32 v65, v32
	v_mul_lo_u32 v65, v65, 56
	v_add3_u32 v65, 16, s6, v65
	s_add_i32 s6, s5, -1
	s_and_b32 s7, s6, 0xffff
	s_mul_i32 s7, s7, 0x8889
	buffer_load_dword v65, v65, s[0:3], 0 offen
	s_lshr_b32 s7, s7, 20
	s_mul_i32 s8, s7, 30
	s_sub_i32 s6, s6, s8
	s_and_b32 m0, s6, 0xffff
	s_lshl_b32 s6, s7, 2
	v_movrels_b32_e32 v66, v32
	v_mul_lo_u32 v66, v66, 56
	v_add3_u32 v66, 16, s6, v66
	s_and_b32 s6, s5, 0xffff
	s_mul_i32 s6, s6, 0x8889
	s_lshr_b32 s6, s6, 20
	s_mul_i32 s7, s6, 30
	s_lshl_b32 s6, s6, 2
	s_sub_i32 s7, s5, s7
	s_add_i32 s5, s5, 8
	s_and_b32 m0, s7, 0xffff
	s_waitcnt vmcnt(0)
	buffer_store_dword v65, v67, s[0:3], 0 offen offset:20
	buffer_load_dword v65, v66, s[0:3], 0 offen
	v_movrels_b32_e32 v66, v32
	v_mul_lo_u32 v66, v66, 56
	v_add3_u32 v66, 16, s6, v66
	s_mov_b32 s6, 0
	s_waitcnt vmcnt(0)
	buffer_store_dword v65, v67, s[0:3], 0 offen offset:24
	buffer_load_dword v65, v66, s[0:3], 0 offen
	s_waitcnt vmcnt(0)
	buffer_store_dword v65, v67, s[0:3], 0 offen offset:28
	s_branch .LBB1_48
.LBB1_51:                               ;   in Loop: Header=BB1_14 Depth=1
	buffer_load_dword v65, off, s[0:3], 0 offset:1824
	v_mov_b32_e32 v66, 0
	s_mov_b32 s4, 4
	s_waitcnt vmcnt(0)
	v_mov_b32_e32 v67, v65
.LBB1_52:                               ;   Parent Loop BB1_14 Depth=1
                                        ; =>  This Inner Loop Header: Depth=2
	v_add_nc_u32_e64 v72, 0x720, s4
	v_mul_lo_u32 v84, 0x68, v67
	s_add_i32 s4, s4, 48
	s_clause 0xb
	buffer_load_dword v73, v72, s[0:3], 0 offen
	buffer_load_dword v74, v72, s[0:3], 0 offen offset:4
	buffer_load_dword v75, v72, s[0:3], 0 offen offset:8
	;; [unrolled: 1-line block ×11, first 2 shown]
	s_cmpk_lg_i32 s4, 0x634
	s_waitcnt vmcnt(11)
	v_lshl_add_u32 v72, v73, 2, v84
	v_mul_lo_u32 v73, 0x68, v73
	s_waitcnt vmcnt(10)
	v_mul_lo_u32 v84, 0x68, v74
	s_waitcnt vmcnt(9)
	;; [unrolled: 2-line block ×3, first 2 shown]
	v_mul_lo_u32 v86, 0x68, v76
	ds_read_b32 v72, v72
	s_waitcnt vmcnt(7)
	v_mul_lo_u32 v87, 0x68, v77
	s_waitcnt vmcnt(6)
	v_mul_lo_u32 v88, 0x68, v78
	;; [unrolled: 2-line block ×3, first 2 shown]
	v_lshl_add_u32 v73, v74, 2, v73
	v_lshl_add_u32 v74, v75, 2, v84
	;; [unrolled: 1-line block ×4, first 2 shown]
	ds_read_b32 v73, v73
	ds_read_b32 v74, v74
	v_lshl_add_u32 v77, v78, 2, v87
	v_lshl_add_u32 v78, v79, 2, v88
	s_waitcnt vmcnt(4)
	v_lshl_add_u32 v79, v80, 2, v89
	ds_read_b32 v75, v75
	ds_read_b32 v76, v76
	;; [unrolled: 1-line block ×5, first 2 shown]
	s_waitcnt lgkmcnt(7)
	v_add_f32_e32 v66, v66, v72
	v_mul_lo_u32 v72, 0x68, v80
	s_waitcnt lgkmcnt(6)
	v_add_f32_e32 v66, v66, v73
	s_waitcnt vmcnt(3)
	v_mul_lo_u32 v73, 0x68, v81
	v_lshl_add_u32 v72, v81, 2, v72
	s_waitcnt lgkmcnt(5)
	v_add_f32_e32 v66, v66, v74
	s_waitcnt vmcnt(2)
	v_mul_lo_u32 v74, 0x68, v82
	ds_read_b32 v72, v72
	v_lshl_add_u32 v73, v82, 2, v73
	s_waitcnt lgkmcnt(5)
	v_add_f32_e32 v66, v66, v75
	s_waitcnt vmcnt(1)
	v_mul_lo_u32 v75, 0x68, v83
	v_lshl_add_u32 v74, v83, 2, v74
	s_waitcnt lgkmcnt(4)
	v_add_f32_e32 v66, v66, v76
	ds_read_b32 v73, v73
	ds_read_b32 v74, v74
	s_waitcnt lgkmcnt(5)
	v_add_f32_e32 v66, v66, v77
	s_waitcnt vmcnt(0)
	v_lshl_add_u32 v75, v67, 2, v75
	s_waitcnt lgkmcnt(4)
	v_add_f32_e32 v66, v66, v78
	ds_read_b32 v75, v75
	s_waitcnt lgkmcnt(4)
	v_add_f32_e32 v66, v66, v79
	s_waitcnt lgkmcnt(3)
	v_add_f32_e32 v66, v66, v72
	;; [unrolled: 2-line block ×5, first 2 shown]
	s_cbranch_scc1 .LBB1_52
; %bb.53:                               ;   in Loop: Header=BB1_14 Depth=1
	s_mov_b32 s4, exec_lo
	v_cmpx_lt_f32_e32 v66, v70
	s_cbranch_execz .LBB1_13
; %bb.54:                               ;   in Loop: Header=BB1_14 Depth=1
	v_mov_b32_e32 v0, 0
	s_inst_prefetch 0x1
	s_branch .LBB1_56
	.p2align	6
.LBB1_55:                               ;   in Loop: Header=BB1_56 Depth=2
	s_andn2_b32 vcc_lo, exec_lo, s5
	s_cbranch_vccz .LBB1_12
.LBB1_56:                               ;   Parent Loop BB1_14 Depth=1
                                        ; =>  This Inner Loop Header: Depth=2
	v_add_nc_u32_e32 v2, 0x720, v0
	v_cmp_eq_u32_e32 vcc_lo, 0x620, v0
	v_add_nc_u32_e32 v1, 0xd60, v0
	s_mov_b32 s5, -1
	s_clause 0x3
	buffer_load_dword v3, v2, s[0:3], 0 offen offset:4
	buffer_load_dword v4, v2, s[0:3], 0 offen offset:8
	;; [unrolled: 1-line block ×4, first 2 shown]
	s_and_b32 vcc_lo, exec_lo, vcc_lo
	s_waitcnt vmcnt(4)
	buffer_store_dword v65, v1, s[0:3], 0 offen
                                        ; implicit-def: $vgpr65
	s_waitcnt vmcnt(3)
	buffer_store_dword v3, v1, s[0:3], 0 offen offset:4
	s_waitcnt vmcnt(2)
	buffer_store_dword v4, v1, s[0:3], 0 offen offset:8
	;; [unrolled: 2-line block ×4, first 2 shown]
	s_cbranch_vccnz .LBB1_55
; %bb.57:                               ;   in Loop: Header=BB1_56 Depth=2
	s_clause 0x3
	buffer_load_dword v3, v2, s[0:3], 0 offen offset:20
	buffer_load_dword v4, v2, s[0:3], 0 offen offset:24
	;; [unrolled: 1-line block ×4, first 2 shown]
	v_add_nc_u32_e32 v0, 32, v0
	s_mov_b32 s5, 0
	s_waitcnt vmcnt(3)
	buffer_store_dword v3, v1, s[0:3], 0 offen offset:20
	s_waitcnt vmcnt(2)
	buffer_store_dword v4, v1, s[0:3], 0 offen offset:24
	;; [unrolled: 2-line block ×3, first 2 shown]
	s_branch .LBB1_55
.LBB1_58:
	v_mul_lo_u32 v0, 0x18d, v64
	s_movk_i32 s6, 0xd60
	s_mov_b64 s[4:5], 0
	v_ashrrev_i32_e32 v1, 31, v0
	v_lshlrev_b64 v[0:1], 2, v[0:1]
	v_add_co_u32 v2, vcc_lo, s68, v0
	v_add_co_ci_u32_e64 v3, null, s69, v1, vcc_lo
	s_inst_prefetch 0x1
	s_branch .LBB1_60
	.p2align	6
.LBB1_59:                               ;   in Loop: Header=BB1_60 Depth=1
	s_andn2_b32 vcc_lo, exec_lo, s7
	s_cbranch_vccz .LBB1_62
.LBB1_60:                               ; =>This Inner Loop Header: Depth=1
	v_mov_b32_e32 v0, s6
	s_mov_b32 s7, -1
	s_cmpk_eq_i32 s4, 0x620
	s_clause 0x4
	buffer_load_dword v4, v0, s[0:3], 0 offen
	buffer_load_dword v5, v0, s[0:3], 0 offen offset:4
	buffer_load_dword v6, v0, s[0:3], 0 offen offset:8
	;; [unrolled: 1-line block ×4, first 2 shown]
	v_add_co_u32 v0, vcc_lo, v2, s4
	v_add_co_ci_u32_e64 v1, null, s5, v3, vcc_lo
	s_waitcnt vmcnt(1)
	global_store_dwordx4 v[0:1], v[4:7], off
	s_waitcnt vmcnt(0)
	global_store_dword v[0:1], v8, off offset:16
	s_cbranch_scc1 .LBB1_59
; %bb.61:                               ;   in Loop: Header=BB1_60 Depth=1
	v_mov_b32_e32 v6, s6
	s_add_u32 s4, s4, 32
	s_addc_u32 s5, s5, 0
	s_add_i32 s6, s6, 32
	s_mov_b32 s7, 0
	s_clause 0x2
	buffer_load_dword v4, v6, s[0:3], 0 offen offset:20
	buffer_load_dword v5, v6, s[0:3], 0 offen offset:24
	;; [unrolled: 1-line block ×3, first 2 shown]
	s_waitcnt vmcnt(0)
	global_store_dwordx3 v[0:1], v[4:6], off offset:20
	s_branch .LBB1_59
.LBB1_62:
	s_inst_prefetch 0x2
	s_endpgm
	.section	.rodata,"a",@progbits
	.p2align	6, 0x0
	.amdhsa_kernel _Z6decodePKfPKiPKjPi
		.amdhsa_group_segment_fixed_size 2704
		.amdhsa_private_segment_fixed_size 5152
		.amdhsa_kernarg_size 288
		.amdhsa_user_sgpr_count 6
		.amdhsa_user_sgpr_private_segment_buffer 1
		.amdhsa_user_sgpr_dispatch_ptr 0
		.amdhsa_user_sgpr_queue_ptr 0
		.amdhsa_user_sgpr_kernarg_segment_ptr 1
		.amdhsa_user_sgpr_dispatch_id 0
		.amdhsa_user_sgpr_flat_scratch_init 0
		.amdhsa_user_sgpr_private_segment_size 0
		.amdhsa_wavefront_size32 1
		.amdhsa_uses_dynamic_stack 0
		.amdhsa_system_sgpr_private_segment_wavefront_offset 1
		.amdhsa_system_sgpr_workgroup_id_x 1
		.amdhsa_system_sgpr_workgroup_id_y 0
		.amdhsa_system_sgpr_workgroup_id_z 0
		.amdhsa_system_sgpr_workgroup_info 0
		.amdhsa_system_vgpr_workitem_id 0
		.amdhsa_next_free_vgpr 90
		.amdhsa_next_free_sgpr 79
		.amdhsa_reserve_vcc 1
		.amdhsa_reserve_flat_scratch 0
		.amdhsa_float_round_mode_32 0
		.amdhsa_float_round_mode_16_64 0
		.amdhsa_float_denorm_mode_32 3
		.amdhsa_float_denorm_mode_16_64 3
		.amdhsa_dx10_clamp 1
		.amdhsa_ieee_mode 1
		.amdhsa_fp16_overflow 0
		.amdhsa_workgroup_processor_mode 1
		.amdhsa_memory_ordered 1
		.amdhsa_forward_progress 1
		.amdhsa_shared_vgpr_count 0
		.amdhsa_exception_fp_ieee_invalid_op 0
		.amdhsa_exception_fp_denorm_src 0
		.amdhsa_exception_fp_ieee_div_zero 0
		.amdhsa_exception_fp_ieee_overflow 0
		.amdhsa_exception_fp_ieee_underflow 0
		.amdhsa_exception_fp_ieee_inexact 0
		.amdhsa_exception_int_div_zero 0
	.end_amdhsa_kernel
	.text
.Lfunc_end1:
	.size	_Z6decodePKfPKiPKjPi, .Lfunc_end1-_Z6decodePKfPKiPKjPi
                                        ; -- End function
	.set _Z6decodePKfPKiPKjPi.num_vgpr, 90
	.set _Z6decodePKfPKiPKjPi.num_agpr, 0
	.set _Z6decodePKfPKiPKjPi.numbered_sgpr, 79
	.set _Z6decodePKfPKiPKjPi.num_named_barrier, 0
	.set _Z6decodePKfPKiPKjPi.private_seg_size, 5152
	.set _Z6decodePKfPKiPKjPi.uses_vcc, 1
	.set _Z6decodePKfPKiPKjPi.uses_flat_scratch, 0
	.set _Z6decodePKfPKiPKjPi.has_dyn_sized_stack, 0
	.set _Z6decodePKfPKiPKjPi.has_recursion, 0
	.set _Z6decodePKfPKiPKjPi.has_indirect_call, 0
	.section	.AMDGPU.csdata,"",@progbits
; Kernel info:
; codeLenInByte = 13812
; TotalNumSgprs: 81
; NumVgprs: 90
; ScratchSize: 5152
; MemoryBound: 0
; FloatMode: 240
; IeeeMode: 1
; LDSByteSize: 2704 bytes/workgroup (compile time only)
; SGPRBlocks: 0
; VGPRBlocks: 11
; NumSGPRsForWavesPerEU: 81
; NumVGPRsForWavesPerEU: 90
; Occupancy: 10
; WaveLimiterHint : 0
; COMPUTE_PGM_RSRC2:SCRATCH_EN: 1
; COMPUTE_PGM_RSRC2:USER_SGPR: 6
; COMPUTE_PGM_RSRC2:TRAP_HANDLER: 0
; COMPUTE_PGM_RSRC2:TGID_X_EN: 1
; COMPUTE_PGM_RSRC2:TGID_Y_EN: 0
; COMPUTE_PGM_RSRC2:TGID_Z_EN: 0
; COMPUTE_PGM_RSRC2:TIDIG_COMP_CNT: 0
	.text
	.p2alignl 6, 3214868480
	.fill 48, 4, 3214868480
	.section	.AMDGPU.gpr_maximums,"",@progbits
	.set amdgpu.max_num_vgpr, 0
	.set amdgpu.max_num_agpr, 0
	.set amdgpu.max_num_sgpr, 0
	.text
	.type	__hip_cuid_6e7ee354d1ceebaa,@object ; @__hip_cuid_6e7ee354d1ceebaa
	.section	.bss,"aw",@nobits
	.globl	__hip_cuid_6e7ee354d1ceebaa
__hip_cuid_6e7ee354d1ceebaa:
	.byte	0                               ; 0x0
	.size	__hip_cuid_6e7ee354d1ceebaa, 1

	.ident	"AMD clang version 22.0.0git (https://github.com/RadeonOpenCompute/llvm-project roc-7.2.4 26084 f58b06dce1f9c15707c5f808fd002e18c2accf7e)"
	.section	".note.GNU-stack","",@progbits
	.addrsig
	.addrsig_sym __hip_cuid_6e7ee354d1ceebaa
	.amdgpu_metadata
---
amdhsa.kernels:
  - .args:
      - .address_space:  global
        .offset:         0
        .size:           8
        .value_kind:     global_buffer
      - .offset:         8
        .size:           4
        .value_kind:     hidden_block_count_x
      - .offset:         12
        .size:           4
        .value_kind:     hidden_block_count_y
      - .offset:         16
        .size:           4
        .value_kind:     hidden_block_count_z
      - .offset:         20
        .size:           2
        .value_kind:     hidden_group_size_x
      - .offset:         22
        .size:           2
        .value_kind:     hidden_group_size_y
      - .offset:         24
        .size:           2
        .value_kind:     hidden_group_size_z
      - .offset:         26
        .size:           2
        .value_kind:     hidden_remainder_x
      - .offset:         28
        .size:           2
        .value_kind:     hidden_remainder_y
      - .offset:         30
        .size:           2
        .value_kind:     hidden_remainder_z
      - .offset:         48
        .size:           8
        .value_kind:     hidden_global_offset_x
      - .offset:         56
        .size:           8
        .value_kind:     hidden_global_offset_y
      - .offset:         64
        .size:           8
        .value_kind:     hidden_global_offset_z
      - .offset:         72
        .size:           2
        .value_kind:     hidden_grid_dims
    .group_segment_fixed_size: 0
    .kernarg_segment_align: 8
    .kernarg_segment_size: 264
    .language:       OpenCL C
    .language_version:
      - 2
      - 0
    .max_flat_workgroup_size: 1024
    .name:           _Z11setupKernelPj
    .private_segment_fixed_size: 0
    .sgpr_count:     9
    .sgpr_spill_count: 0
    .symbol:         _Z11setupKernelPj.kd
    .uniform_work_group_size: 1
    .uses_dynamic_stack: false
    .vgpr_count:     5
    .vgpr_spill_count: 0
    .wavefront_size: 32
    .workgroup_processor_mode: 1
  - .args:
      - .actual_access:  read_only
        .address_space:  global
        .offset:         0
        .size:           8
        .value_kind:     global_buffer
      - .actual_access:  read_only
        .address_space:  global
        .offset:         8
        .size:           8
        .value_kind:     global_buffer
      - .actual_access:  read_only
        .address_space:  global
        .offset:         16
        .size:           8
        .value_kind:     global_buffer
      - .actual_access:  write_only
        .address_space:  global
        .offset:         24
        .size:           8
        .value_kind:     global_buffer
      - .offset:         32
        .size:           4
        .value_kind:     hidden_block_count_x
      - .offset:         36
        .size:           4
        .value_kind:     hidden_block_count_y
      - .offset:         40
        .size:           4
        .value_kind:     hidden_block_count_z
      - .offset:         44
        .size:           2
        .value_kind:     hidden_group_size_x
      - .offset:         46
        .size:           2
        .value_kind:     hidden_group_size_y
      - .offset:         48
        .size:           2
        .value_kind:     hidden_group_size_z
      - .offset:         50
        .size:           2
        .value_kind:     hidden_remainder_x
      - .offset:         52
        .size:           2
        .value_kind:     hidden_remainder_y
      - .offset:         54
        .size:           2
        .value_kind:     hidden_remainder_z
      - .offset:         72
        .size:           8
        .value_kind:     hidden_global_offset_x
      - .offset:         80
        .size:           8
        .value_kind:     hidden_global_offset_y
      - .offset:         88
        .size:           8
        .value_kind:     hidden_global_offset_z
      - .offset:         96
        .size:           2
        .value_kind:     hidden_grid_dims
    .group_segment_fixed_size: 2704
    .kernarg_segment_align: 8
    .kernarg_segment_size: 288
    .language:       OpenCL C
    .language_version:
      - 2
      - 0
    .max_flat_workgroup_size: 1024
    .name:           _Z6decodePKfPKiPKjPi
    .private_segment_fixed_size: 5152
    .sgpr_count:     81
    .sgpr_spill_count: 0
    .symbol:         _Z6decodePKfPKiPKjPi.kd
    .uniform_work_group_size: 1
    .uses_dynamic_stack: false
    .vgpr_count:     90
    .vgpr_spill_count: 0
    .wavefront_size: 32
    .workgroup_processor_mode: 1
amdhsa.target:   amdgcn-amd-amdhsa--gfx1030
amdhsa.version:
  - 1
  - 2
...

	.end_amdgpu_metadata
